;; amdgpu-corpus repo=ROCm/rocFFT kind=compiled arch=gfx90a opt=O3
	.text
	.amdgcn_target "amdgcn-amd-amdhsa--gfx90a"
	.amdhsa_code_object_version 6
	.protected	fft_rtc_fwd_len768_factors_16_3_16_wgs_48_tpt_48_halfLds_sp_op_CI_CI_sbrr_dirReg ; -- Begin function fft_rtc_fwd_len768_factors_16_3_16_wgs_48_tpt_48_halfLds_sp_op_CI_CI_sbrr_dirReg
	.globl	fft_rtc_fwd_len768_factors_16_3_16_wgs_48_tpt_48_halfLds_sp_op_CI_CI_sbrr_dirReg
	.p2align	8
	.type	fft_rtc_fwd_len768_factors_16_3_16_wgs_48_tpt_48_halfLds_sp_op_CI_CI_sbrr_dirReg,@function
fft_rtc_fwd_len768_factors_16_3_16_wgs_48_tpt_48_halfLds_sp_op_CI_CI_sbrr_dirReg: ; @fft_rtc_fwd_len768_factors_16_3_16_wgs_48_tpt_48_halfLds_sp_op_CI_CI_sbrr_dirReg
; %bb.0:
	s_load_dwordx4 s[16:19], s[4:5], 0x18
	s_load_dwordx4 s[12:15], s[4:5], 0x0
	;; [unrolled: 1-line block ×3, first 2 shown]
	v_mul_u32_u24_e32 v1, 0x556, v0
	v_mov_b32_e32 v2, 0
	s_waitcnt lgkmcnt(0)
	s_load_dwordx2 s[20:21], s[16:17], 0x0
	s_load_dwordx2 s[2:3], s[18:19], 0x0
	v_cmp_lt_u64_e64 s[0:1], s[14:15], 2
	v_add_u32_sdwa v8, s6, v1 dst_sel:DWORD dst_unused:UNUSED_PAD src0_sel:DWORD src1_sel:WORD_1
	v_mov_b32_e32 v9, v2
	s_and_b64 vcc, exec, s[0:1]
	v_pk_mov_b32 v[14:15], 0, 0
	s_cbranch_vccnz .LBB0_8
; %bb.1:
	s_load_dwordx2 s[0:1], s[4:5], 0x10
	s_add_u32 s6, s18, 8
	s_addc_u32 s7, s19, 0
	s_add_u32 s22, s16, 8
	s_addc_u32 s23, s17, 0
	s_waitcnt lgkmcnt(0)
	s_add_u32 s24, s0, 8
	v_pk_mov_b32 v[14:15], 0, 0
	s_addc_u32 s25, s1, 0
	s_mov_b64 s[26:27], 1
	v_pk_mov_b32 v[4:5], v[14:15], v[14:15] op_sel:[0,1]
.LBB0_2:                                ; =>This Inner Loop Header: Depth=1
	s_load_dwordx2 s[28:29], s[24:25], 0x0
                                        ; implicit-def: $vgpr6_vgpr7
	s_waitcnt lgkmcnt(0)
	v_or_b32_e32 v3, s29, v9
	v_cmp_ne_u64_e32 vcc, 0, v[2:3]
	s_and_saveexec_b64 s[0:1], vcc
	s_xor_b64 s[30:31], exec, s[0:1]
	s_cbranch_execz .LBB0_4
; %bb.3:                                ;   in Loop: Header=BB0_2 Depth=1
	v_cvt_f32_u32_e32 v1, s28
	v_cvt_f32_u32_e32 v3, s29
	s_sub_u32 s0, 0, s28
	s_subb_u32 s1, 0, s29
	v_mac_f32_e32 v1, 0x4f800000, v3
	v_rcp_f32_e32 v1, v1
	v_mul_f32_e32 v1, 0x5f7ffffc, v1
	v_mul_f32_e32 v3, 0x2f800000, v1
	v_trunc_f32_e32 v3, v3
	v_mac_f32_e32 v1, 0xcf800000, v3
	v_cvt_u32_f32_e32 v3, v3
	v_cvt_u32_f32_e32 v1, v1
	v_mul_lo_u32 v6, s0, v3
	v_mul_hi_u32 v10, s0, v1
	v_mul_lo_u32 v7, s1, v1
	v_add_u32_e32 v6, v10, v6
	v_mul_lo_u32 v11, s0, v1
	v_add_u32_e32 v6, v6, v7
	v_mul_hi_u32 v10, v1, v11
	v_mul_lo_u32 v12, v1, v6
	v_mul_hi_u32 v7, v1, v6
	v_add_co_u32_e32 v10, vcc, v10, v12
	v_addc_co_u32_e32 v7, vcc, 0, v7, vcc
	v_mul_hi_u32 v13, v3, v11
	v_mul_lo_u32 v11, v3, v11
	v_add_co_u32_e32 v10, vcc, v10, v11
	v_mul_hi_u32 v12, v3, v6
	v_addc_co_u32_e32 v7, vcc, v7, v13, vcc
	v_addc_co_u32_e32 v10, vcc, 0, v12, vcc
	v_mul_lo_u32 v6, v3, v6
	v_add_co_u32_e32 v6, vcc, v7, v6
	v_addc_co_u32_e32 v7, vcc, 0, v10, vcc
	v_add_co_u32_e32 v1, vcc, v1, v6
	v_addc_co_u32_e32 v3, vcc, v3, v7, vcc
	v_mul_lo_u32 v6, s0, v3
	v_mul_hi_u32 v7, s0, v1
	v_add_u32_e32 v6, v7, v6
	v_mul_lo_u32 v7, s1, v1
	v_add_u32_e32 v6, v6, v7
	v_mul_lo_u32 v10, s0, v1
	v_mul_hi_u32 v11, v3, v10
	v_mul_lo_u32 v12, v3, v10
	v_mul_lo_u32 v16, v1, v6
	v_mul_hi_u32 v10, v1, v10
	v_mul_hi_u32 v13, v1, v6
	v_add_co_u32_e32 v10, vcc, v10, v16
	v_addc_co_u32_e32 v13, vcc, 0, v13, vcc
	v_add_co_u32_e32 v10, vcc, v10, v12
	v_mul_hi_u32 v7, v3, v6
	v_addc_co_u32_e32 v10, vcc, v13, v11, vcc
	v_addc_co_u32_e32 v7, vcc, 0, v7, vcc
	v_mul_lo_u32 v6, v3, v6
	v_add_co_u32_e32 v6, vcc, v10, v6
	v_addc_co_u32_e32 v7, vcc, 0, v7, vcc
	v_add_co_u32_e32 v1, vcc, v1, v6
	v_addc_co_u32_e32 v3, vcc, v3, v7, vcc
	v_mad_u64_u32 v[6:7], s[0:1], v8, v3, 0
	v_mul_hi_u32 v10, v8, v1
	v_add_co_u32_e32 v12, vcc, v10, v6
	v_addc_co_u32_e32 v13, vcc, 0, v7, vcc
	v_mad_u64_u32 v[10:11], s[0:1], v9, v1, 0
	v_add_co_u32_e32 v1, vcc, v12, v10
	v_mad_u64_u32 v[6:7], s[0:1], v9, v3, 0
	v_addc_co_u32_e32 v1, vcc, v13, v11, vcc
	v_addc_co_u32_e32 v3, vcc, 0, v7, vcc
	v_add_co_u32_e32 v1, vcc, v1, v6
	v_addc_co_u32_e32 v3, vcc, 0, v3, vcc
	v_mul_lo_u32 v10, s29, v1
	v_mul_lo_u32 v11, s28, v3
	v_mad_u64_u32 v[6:7], s[0:1], s28, v1, 0
	v_add3_u32 v7, v7, v11, v10
	v_sub_u32_e32 v10, v9, v7
	v_mov_b32_e32 v11, s29
	v_sub_co_u32_e32 v6, vcc, v8, v6
	v_subb_co_u32_e64 v10, s[0:1], v10, v11, vcc
	v_subrev_co_u32_e64 v11, s[0:1], s28, v6
	v_subbrev_co_u32_e64 v10, s[0:1], 0, v10, s[0:1]
	v_cmp_le_u32_e64 s[0:1], s29, v10
	v_cndmask_b32_e64 v12, 0, -1, s[0:1]
	v_cmp_le_u32_e64 s[0:1], s28, v11
	v_cndmask_b32_e64 v11, 0, -1, s[0:1]
	v_cmp_eq_u32_e64 s[0:1], s29, v10
	v_cndmask_b32_e64 v10, v12, v11, s[0:1]
	v_add_co_u32_e64 v11, s[0:1], 2, v1
	v_addc_co_u32_e64 v12, s[0:1], 0, v3, s[0:1]
	v_add_co_u32_e64 v13, s[0:1], 1, v1
	v_addc_co_u32_e64 v16, s[0:1], 0, v3, s[0:1]
	v_subb_co_u32_e32 v7, vcc, v9, v7, vcc
	v_cmp_ne_u32_e64 s[0:1], 0, v10
	v_cmp_le_u32_e32 vcc, s29, v7
	v_cndmask_b32_e64 v10, v16, v12, s[0:1]
	v_cndmask_b32_e64 v12, 0, -1, vcc
	v_cmp_le_u32_e32 vcc, s28, v6
	v_cndmask_b32_e64 v6, 0, -1, vcc
	v_cmp_eq_u32_e32 vcc, s29, v7
	v_cndmask_b32_e32 v6, v12, v6, vcc
	v_cmp_ne_u32_e32 vcc, 0, v6
	v_cndmask_b32_e32 v7, v3, v10, vcc
	v_cndmask_b32_e64 v3, v13, v11, s[0:1]
	v_cndmask_b32_e32 v6, v1, v3, vcc
.LBB0_4:                                ;   in Loop: Header=BB0_2 Depth=1
	s_andn2_saveexec_b64 s[0:1], s[30:31]
	s_cbranch_execz .LBB0_6
; %bb.5:                                ;   in Loop: Header=BB0_2 Depth=1
	v_cvt_f32_u32_e32 v1, s28
	s_sub_i32 s30, 0, s28
	v_rcp_iflag_f32_e32 v1, v1
	v_mul_f32_e32 v1, 0x4f7ffffe, v1
	v_cvt_u32_f32_e32 v1, v1
	v_mul_lo_u32 v3, s30, v1
	v_mul_hi_u32 v3, v1, v3
	v_add_u32_e32 v1, v1, v3
	v_mul_hi_u32 v1, v8, v1
	v_mul_lo_u32 v3, v1, s28
	v_sub_u32_e32 v3, v8, v3
	v_add_u32_e32 v6, 1, v1
	v_subrev_u32_e32 v7, s28, v3
	v_cmp_le_u32_e32 vcc, s28, v3
	v_cndmask_b32_e32 v3, v3, v7, vcc
	v_cndmask_b32_e32 v1, v1, v6, vcc
	v_add_u32_e32 v6, 1, v1
	v_cmp_le_u32_e32 vcc, s28, v3
	v_cndmask_b32_e32 v6, v1, v6, vcc
	v_mov_b32_e32 v7, v2
.LBB0_6:                                ;   in Loop: Header=BB0_2 Depth=1
	s_or_b64 exec, exec, s[0:1]
	v_mad_u64_u32 v[10:11], s[0:1], v6, s28, 0
	s_load_dwordx2 s[0:1], s[22:23], 0x0
	v_mul_lo_u32 v1, v7, s28
	v_mul_lo_u32 v3, v6, s29
	s_load_dwordx2 s[28:29], s[6:7], 0x0
	s_add_u32 s26, s26, 1
	v_add3_u32 v1, v11, v3, v1
	v_sub_co_u32_e32 v3, vcc, v8, v10
	s_addc_u32 s27, s27, 0
	v_subb_co_u32_e32 v1, vcc, v9, v1, vcc
	s_add_u32 s6, s6, 8
	s_waitcnt lgkmcnt(0)
	v_mul_lo_u32 v8, s0, v1
	v_mul_lo_u32 v9, s1, v3
	v_mad_u64_u32 v[14:15], s[0:1], s0, v3, v[14:15]
	s_addc_u32 s7, s7, 0
	v_add3_u32 v15, v9, v15, v8
	v_mul_lo_u32 v1, s28, v1
	v_mul_lo_u32 v8, s29, v3
	v_mad_u64_u32 v[4:5], s[0:1], s28, v3, v[4:5]
	s_add_u32 s22, s22, 8
	v_add3_u32 v5, v8, v5, v1
	s_addc_u32 s23, s23, 0
	v_pk_mov_b32 v[8:9], s[14:15], s[14:15] op_sel:[0,1]
	s_add_u32 s24, s24, 8
	v_cmp_ge_u64_e32 vcc, s[26:27], v[8:9]
	s_addc_u32 s25, s25, 0
	s_cbranch_vccnz .LBB0_9
; %bb.7:                                ;   in Loop: Header=BB0_2 Depth=1
	v_pk_mov_b32 v[8:9], v[6:7], v[6:7] op_sel:[0,1]
	s_branch .LBB0_2
.LBB0_8:
	v_pk_mov_b32 v[4:5], v[14:15], v[14:15] op_sel:[0,1]
	v_pk_mov_b32 v[6:7], v[8:9], v[8:9] op_sel:[0,1]
.LBB0_9:
	s_load_dwordx2 s[0:1], s[4:5], 0x28
	s_lshl_b64 s[14:15], s[14:15], 3
	s_add_u32 s4, s18, s14
	s_addc_u32 s5, s19, s15
                                        ; implicit-def: $sgpr18_sgpr19
                                        ; implicit-def: $sgpr22
                                        ; implicit-def: $vgpr48
                                        ; implicit-def: $vgpr49
                                        ; implicit-def: $vgpr50
                                        ; implicit-def: $vgpr51
                                        ; implicit-def: $vgpr52
                                        ; implicit-def: $vgpr53
	s_waitcnt lgkmcnt(0)
	v_cmp_gt_u64_e32 vcc, s[0:1], v[6:7]
	v_cmp_le_u64_e64 s[0:1], s[0:1], v[6:7]
	s_and_saveexec_b64 s[6:7], s[0:1]
	s_xor_b64 s[0:1], exec, s[6:7]
; %bb.10:
	s_mov_b32 s6, 0x5555556
	v_mul_hi_u32 v1, v0, s6
	v_mul_u32_u24_e32 v1, 48, v1
	v_sub_u32_e32 v48, v0, v1
	v_add_u32_e32 v49, 48, v48
	v_add_u32_e32 v50, 0x60, v48
	;; [unrolled: 1-line block ×3, first 2 shown]
	v_or_b32_e32 v52, 0xc0, v48
	v_add_u32_e32 v53, 0xf0, v48
	s_mov_b32 s22, 0
	s_mov_b64 s[18:19], 0
                                        ; implicit-def: $vgpr0
                                        ; implicit-def: $vgpr14_vgpr15
; %bb.11:
	s_or_saveexec_b64 s[6:7], s[0:1]
	v_mov_b32_e32 v80, s22
	v_pk_mov_b32 v[2:3], s[18:19], s[18:19] op_sel:[0,1]
	v_pk_mov_b32 v[8:9], s[18:19], s[18:19] op_sel:[0,1]
	;; [unrolled: 1-line block ×8, first 2 shown]
                                        ; implicit-def: $vgpr12
                                        ; implicit-def: $vgpr1
                                        ; implicit-def: $vgpr24
                                        ; implicit-def: $vgpr30
                                        ; implicit-def: $vgpr28
                                        ; implicit-def: $vgpr13
                                        ; implicit-def: $vgpr41
                                        ; implicit-def: $vgpr35
                                        ; implicit-def: $vgpr33
                                        ; implicit-def: $vgpr38
                                        ; implicit-def: $vgpr36
	s_xor_b64 exec, exec, s[6:7]
	s_cbranch_execz .LBB0_13
; %bb.12:
	s_add_u32 s0, s16, s14
	s_addc_u32 s1, s17, s15
	s_load_dwordx2 s[0:1], s[0:1], 0x0
	s_mov_b32 s14, 0x5555556
	s_waitcnt lgkmcnt(0)
	v_mul_lo_u32 v1, s1, v6
	v_mul_lo_u32 v8, s0, v7
	v_mad_u64_u32 v[2:3], s[0:1], s0, v6, 0
	v_add3_u32 v3, v3, v8, v1
	v_mul_hi_u32 v1, v0, s14
	v_mul_u32_u24_e32 v1, 48, v1
	v_sub_u32_e32 v48, v0, v1
	v_mad_u64_u32 v[0:1], s[0:1], s20, v48, 0
	v_mov_b32_e32 v8, v1
	v_mad_u64_u32 v[8:9], s[0:1], s21, v48, v[8:9]
	v_lshlrev_b64 v[2:3], 3, v[2:3]
	v_mov_b32_e32 v1, v8
	v_mov_b32_e32 v8, s9
	v_add_co_u32_e64 v9, s[0:1], s8, v2
	v_addc_co_u32_e64 v8, s[0:1], v8, v3, s[0:1]
	v_lshlrev_b64 v[2:3], 3, v[14:15]
	v_add_co_u32_e64 v38, s[0:1], v9, v2
	v_addc_co_u32_e64 v39, s[0:1], v8, v3, s[0:1]
	v_lshlrev_b64 v[0:1], 3, v[0:1]
	v_add_co_u32_e64 v0, s[0:1], v38, v0
	v_add_u32_e32 v49, 48, v48
	v_addc_co_u32_e64 v1, s[0:1], v39, v1, s[0:1]
	v_mad_u64_u32 v[2:3], s[0:1], s20, v49, 0
	v_mov_b32_e32 v8, v3
	v_mad_u64_u32 v[8:9], s[0:1], s21, v49, v[8:9]
	v_mov_b32_e32 v3, v8
	v_lshlrev_b64 v[2:3], 3, v[2:3]
	v_add_co_u32_e64 v8, s[0:1], v38, v2
	v_add_u32_e32 v50, 0x60, v48
	v_addc_co_u32_e64 v9, s[0:1], v39, v3, s[0:1]
	v_mad_u64_u32 v[2:3], s[0:1], s20, v50, 0
	v_mov_b32_e32 v10, v3
	v_mad_u64_u32 v[10:11], s[0:1], s21, v50, v[10:11]
	v_mov_b32_e32 v3, v10
	;; [unrolled: 8-line block ×3, first 2 shown]
	v_lshlrev_b64 v[2:3], 3, v[2:3]
	v_add_co_u32_e64 v14, s[0:1], v38, v2
	v_or_b32_e32 v52, 0xc0, v48
	v_addc_co_u32_e64 v15, s[0:1], v39, v3, s[0:1]
	global_load_dwordx2 v[2:3], v[0:1], off
	global_load_dwordx2 v[10:11], v[8:9], off
	;; [unrolled: 1-line block ×4, first 2 shown]
	v_mad_u64_u32 v[0:1], s[0:1], s20, v52, 0
	v_mov_b32_e32 v8, v1
	v_mad_u64_u32 v[8:9], s[0:1], s21, v52, v[8:9]
	v_mov_b32_e32 v1, v8
	v_lshlrev_b64 v[0:1], 3, v[0:1]
	v_add_co_u32_e64 v0, s[0:1], v38, v0
	v_add_u32_e32 v53, 0xf0, v48
	v_addc_co_u32_e64 v1, s[0:1], v39, v1, s[0:1]
	v_mad_u64_u32 v[8:9], s[0:1], s20, v53, 0
	v_mov_b32_e32 v12, v9
	v_mad_u64_u32 v[12:13], s[0:1], s21, v53, v[12:13]
	v_mov_b32_e32 v9, v12
	v_lshlrev_b64 v[8:9], 3, v[8:9]
	v_add_co_u32_e64 v12, s[0:1], v38, v8
	v_add_u32_e32 v15, 0x120, v48
	v_addc_co_u32_e64 v13, s[0:1], v39, v9, s[0:1]
	;; [unrolled: 8-line block ×3, first 2 shown]
	v_mad_u64_u32 v[8:9], s[0:1], s20, v21, 0
	v_mov_b32_e32 v20, v9
	v_mad_u64_u32 v[20:21], s[0:1], s21, v21, v[20:21]
	v_mov_b32_e32 v9, v20
	v_lshlrev_b64 v[8:9], 3, v[8:9]
	v_add_co_u32_e64 v24, s[0:1], v38, v8
	v_addc_co_u32_e64 v25, s[0:1], v39, v9, s[0:1]
	global_load_dwordx2 v[8:9], v[0:1], off
	global_load_dwordx2 v[20:21], v[12:13], off
	;; [unrolled: 1-line block ×4, first 2 shown]
	v_or_b32_e32 v13, 0x180, v48
	v_mad_u64_u32 v[0:1], s[0:1], s20, v13, 0
	v_mov_b32_e32 v12, v1
	v_mad_u64_u32 v[12:13], s[0:1], s21, v13, v[12:13]
	v_mov_b32_e32 v1, v12
	v_lshlrev_b64 v[0:1], 3, v[0:1]
	v_add_co_u32_e64 v0, s[0:1], v38, v0
	v_add_u32_e32 v15, 0x1b0, v48
	v_addc_co_u32_e64 v1, s[0:1], v39, v1, s[0:1]
	v_mad_u64_u32 v[12:13], s[0:1], s20, v15, 0
	v_mov_b32_e32 v14, v13
	v_mad_u64_u32 v[14:15], s[0:1], s21, v15, v[14:15]
	v_mov_b32_e32 v13, v14
	v_lshlrev_b64 v[12:13], 3, v[12:13]
	v_add_co_u32_e64 v14, s[0:1], v38, v12
	v_add_u32_e32 v25, 0x1e0, v48
	v_addc_co_u32_e64 v15, s[0:1], v39, v13, s[0:1]
	v_mad_u64_u32 v[12:13], s[0:1], s20, v25, 0
	v_mov_b32_e32 v24, v13
	v_mad_u64_u32 v[24:25], s[0:1], s21, v25, v[24:25]
	v_mov_b32_e32 v13, v24
	v_lshlrev_b64 v[12:13], 3, v[12:13]
	v_add_co_u32_e64 v32, s[0:1], v38, v12
	v_add_u32_e32 v25, 0x210, v48
	v_addc_co_u32_e64 v33, s[0:1], v39, v13, s[0:1]
	v_mad_u64_u32 v[12:13], s[0:1], s20, v25, 0
	v_mov_b32_e32 v24, v13
	v_mad_u64_u32 v[24:25], s[0:1], s21, v25, v[24:25]
	v_mov_b32_e32 v13, v24
	v_lshlrev_b64 v[12:13], 3, v[12:13]
	v_add_co_u32_e64 v34, s[0:1], v38, v12
	v_addc_co_u32_e64 v35, s[0:1], v39, v13, s[0:1]
	global_load_dwordx2 v[12:13], v[0:1], off
	global_load_dwordx2 v[24:25], v[14:15], off
	;; [unrolled: 1-line block ×4, first 2 shown]
	v_or_b32_e32 v15, 0x240, v48
	v_mad_u64_u32 v[0:1], s[0:1], s20, v15, 0
	v_mov_b32_e32 v14, v1
	v_mad_u64_u32 v[14:15], s[0:1], s21, v15, v[14:15]
	v_mov_b32_e32 v1, v14
	v_lshlrev_b64 v[0:1], 3, v[0:1]
	v_add_co_u32_e64 v0, s[0:1], v38, v0
	v_add_u32_e32 v33, 0x270, v48
	v_addc_co_u32_e64 v1, s[0:1], v39, v1, s[0:1]
	v_mad_u64_u32 v[14:15], s[0:1], s20, v33, 0
	v_mov_b32_e32 v32, v15
	v_mad_u64_u32 v[32:33], s[0:1], s21, v33, v[32:33]
	v_mov_b32_e32 v15, v32
	v_lshlrev_b64 v[14:15], 3, v[14:15]
	v_add_co_u32_e64 v14, s[0:1], v38, v14
	v_add_u32_e32 v35, 0x2a0, v48
	v_addc_co_u32_e64 v15, s[0:1], v39, v15, s[0:1]
	;; [unrolled: 8-line block ×3, first 2 shown]
	v_mad_u64_u32 v[32:33], s[0:1], s20, v37, 0
	v_mov_b32_e32 v36, v33
	v_mad_u64_u32 v[36:37], s[0:1], s21, v37, v[36:37]
	v_mov_b32_e32 v33, v36
	v_lshlrev_b64 v[32:33], 3, v[32:33]
	v_add_co_u32_e64 v42, s[0:1], v38, v32
	v_addc_co_u32_e64 v43, s[0:1], v39, v33, s[0:1]
	global_load_dwordx2 v[40:41], v[0:1], off
	global_load_dwordx2 v[32:33], v[14:15], off
	;; [unrolled: 1-line block ×4, first 2 shown]
	v_mov_b32_e32 v80, v48
	s_waitcnt vmcnt(7)
	v_mov_b32_e32 v1, v13
	s_waitcnt vmcnt(3)
	;; [unrolled: 2-line block ×3, first 2 shown]
	v_mov_b32_e32 v35, v32
.LBB0_13:
	s_or_b64 exec, exec, s[6:7]
	v_sub_f32_e32 v0, v9, v41
	v_add_f32_e32 v42, v9, v9
	v_sub_f32_e32 v9, v18, v30
	v_sub_f32_e32 v54, v19, v31
	v_add_f32_e32 v44, v19, v19
	s_waitcnt vmcnt(1)
	v_sub_f32_e32 v45, v22, v38
	v_sub_f32_e32 v19, v23, v39
	v_fma_f32 v15, v18, 2.0, -v9
	v_fma_f32 v14, v22, 2.0, -v45
	;; [unrolled: 1-line block ×3, first 2 shown]
	v_add_f32_e32 v22, v11, v11
	v_sub_f32_e32 v34, v11, v25
	v_mov_b32_e32 v23, v20
	v_pk_add_f32 v[22:23], v[22:23], v[34:35] neg_lo:[0,1] neg_hi:[0,1]
	v_add_f32_e32 v30, v20, v20
	v_mov_b32_e32 v31, v21
	v_mov_b32_e32 v32, v23
	v_pk_add_f32 v[30:31], v[30:31], v[32:33] neg_lo:[0,1] neg_hi:[0,1]
	v_sub_f32_e32 v41, v16, v28
	v_sub_f32_e32 v28, v17, v29
	v_add_f32_e32 v38, v17, v17
	s_waitcnt vmcnt(0)
	v_sub_f32_e32 v39, v26, v36
	v_sub_f32_e32 v29, v27, v37
	v_fma_f32 v20, v21, 2.0, -v31
	v_mov_b32_e32 v21, v34
	v_fma_f32 v17, v16, 2.0, -v41
	v_fma_f32 v43, v26, 2.0, -v39
	s_mov_b32 s1, 0x3f3504f3
	v_pk_add_f32 v[36:37], v[38:39], v[28:29] op_sel_hi:[1,0]
	v_pk_add_f32 v[46:47], v[22:23], v[20:21] neg_lo:[0,1] neg_hi:[0,1]
	v_fma_f32 v56, v27, 2.0, -v29
	v_pk_mul_f32 v[26:27], v[36:37], s[0:1]
	v_pk_add_f32 v[20:21], v[22:23], v[20:21]
	v_fma_f32 v64, v22, 2.0, -v46
	v_sub_f32_e32 v22, v17, v43
	v_sub_f32_e32 v11, v10, v24
	;; [unrolled: 1-line block ×3, first 2 shown]
	v_fma_f32 v19, v34, 2.0, -v21
	v_fma_f32 v26, v17, 2.0, -v22
	v_sub_f32_e32 v17, v41, v29
	v_mov_b32_e32 v47, v21
	v_pk_fma_f32 v[20:21], v[36:37], s[0:1], v[20:21]
	v_fma_f32 v10, v10, 2.0, -v11
	v_fma_f32 v25, v41, 2.0, -v17
	v_mul_f32_e32 v23, 0x3f3504f3, v17
	v_mov_b32_e32 v20, v46
	v_pk_add_f32 v[34:35], v[10:11], v[30:31] neg_lo:[0,1] neg_hi:[0,1]
	v_fma_f32 v68, v9, 2.0, -v60
	v_mul_f32_e32 v9, 0x3f3504f3, v25
	v_pk_add_f32 v[20:21], v[20:21], v[22:23]
	v_fma_f32 v11, v11, 2.0, -v35
	v_pk_add_f32 v[32:33], v[38:39], v[28:29] op_sel_hi:[1,0] neg_lo:[0,1] neg_hi:[0,1]
	v_mov_b32_e32 v57, 0x3f3504f3
	v_fma_f32 v28, v28, 2.0, -v37
	v_pk_fma_f32 v[22:23], v[46:47], 2.0, v[20:21] op_sel_hi:[1,0,1] neg_lo:[0,0,1] neg_hi:[0,0,1]
	s_mov_b32 s7, 0x3ec3ef15
	s_mov_b32 s6, s1
	v_pk_add_f32 v[36:37], v[10:11], v[10:11]
	v_pk_add_f32 v[30:31], v[10:11], v[8:9] neg_lo:[0,1] neg_hi:[0,1]
	v_pk_add_f32 v[38:39], v[32:33], v[56:57] neg_lo:[0,1] neg_hi:[0,1]
	v_mov_b32_e32 v37, v31
	v_pk_mul_f32 v[30:31], v[22:23], s[6:7]
	v_mul_f32_e32 v9, 0x3f6c835e, v23
	v_mov_b32_e32 v23, v35
	v_mov_b32_e32 v39, v27
	;; [unrolled: 1-line block ×3, first 2 shown]
	v_fmac_f32_e32 v23, 0x3f3504f3, v17
	v_mov_b32_e32 v22, v34
	v_mov_b32_e32 v61, v19
	v_pk_add_f32 v[22:23], v[22:23], v[38:39] neg_lo:[0,1] neg_hi:[0,1]
	v_pk_add_f32 v[42:43], v[42:43], v[0:1] neg_lo:[0,1] neg_hi:[0,1]
	v_add_f32_e32 v40, v3, v3
	v_mov_b32_e32 v41, v8
	v_fmac_f32_e32 v61, 0xbf3504f3, v28
	v_sub_f32_e32 v59, v2, v12
	v_mul_f32_e32 v55, 0x3f6c835e, v23
	v_mov_b32_e32 v12, v43
	v_fmac_f32_e32 v61, 0x3f3504f3, v25
	v_pk_add_f32 v[40:41], v[40:41], v[12:13] neg_lo:[0,1] neg_hi:[0,1]
	v_mov_b32_e32 v67, v0
	v_pk_add_f32 v[46:47], v[44:45], v[54:55] op_sel_hi:[1,0] neg_lo:[0,1] neg_hi:[0,1]
	v_pk_add_f32 v[0:1], v[44:45], v[54:55] op_sel_hi:[1,0]
	v_fma_f32 v63, v19, 2.0, -v61
	s_mov_b32 s9, 0x3f6c835e
	s_mov_b32 s8, s1
	v_fma_f32 v58, v2, 2.0, -v59
	v_fma_f32 v66, v8, 2.0, -v41
	v_mov_b32_e32 v47, v1
	v_mov_b32_e32 v19, v57
	v_fma_f32 v27, v32, 2.0, -v38
	v_mul_f32_e32 v25, 0x3f3504f3, v28
	v_mov_b32_e32 v24, v34
	v_pk_add_f32 v[44:45], v[46:47], v[18:19] neg_lo:[0,1] neg_hi:[0,1]
	v_pk_mul_f32 v[2:3], v[0:1], s[0:1]
	v_mul_f32_e32 v19, 0x3ec3ef15, v21
	v_pk_mul_f32 v[38:39], v[20:21], s[8:9]
	v_pk_add_f32 v[20:21], v[58:59], v[66:67] neg_lo:[0,1] neg_hi:[0,1]
	v_pk_add_f32 v[36:37], v[36:37], v[24:25] neg_lo:[0,1] neg_hi:[0,1]
	v_pk_fma_f32 v[24:25], v[34:35], 2.0, v[22:23] op_sel_hi:[1,0,1] neg_lo:[0,0,1] neg_hi:[0,0,1]
	v_mov_b32_e32 v45, v3
	v_pk_mul_f32 v[2:3], v[22:23], s[6:7]
	v_pk_fma_f32 v[22:23], v[58:59], 2.0, v[20:21] op_sel_hi:[1,0,1] neg_lo:[0,0,1] neg_hi:[0,0,1]
	v_sub_f32_e32 v14, v15, v14
	v_fma_f32 v8, v54, 2.0, -v1
	v_mov_b32_e32 v1, v23
	v_fma_f32 v16, v15, 2.0, -v14
	v_fmac_f32_e32 v1, 0xbf3504f3, v68
	v_mov_b32_e32 v0, v22
	v_mul_f32_e32 v17, 0x3f3504f3, v8
	v_pk_add_f32 v[0:1], v[0:1], v[16:17] neg_lo:[0,1] neg_hi:[0,1]
	v_sub_f32_e32 v32, v64, v27
	v_mov_b32_e32 v27, 0x3f6c835e
	v_pk_fma_f32 v[22:23], v[22:23], 2.0, v[0:1] op_sel_hi:[1,0,1] neg_lo:[0,0,1] neg_hi:[0,0,1]
	v_fma_f32 v65, v11, 2.0, -v37
	v_pk_add_f32 v[10:11], v[36:37], v[26:27] neg_lo:[0,1] neg_hi:[0,1]
	v_mov_b32_e32 v57, v23
	v_mul_f32_e32 v29, 0x3ec3ef15, v63
	v_fma_f32 v28, v36, 2.0, -v10
	v_fmac_f32_e32 v57, 0xbf6c835e, v65
	v_mov_b32_e32 v56, v22
	v_pk_add_f32 v[28:29], v[56:57], v[28:29] neg_lo:[0,1] neg_hi:[0,1]
	v_mov_b32_e32 v57, v21
	v_fmac_f32_e32 v57, 0x3f3504f3, v60
	v_mov_b32_e32 v56, v20
	v_pk_mul_f32 v[34:35], v[24:25], s[8:9]
	v_pk_add_f32 v[56:57], v[56:57], v[44:45] neg_lo:[0,1] neg_hi:[0,1]
	v_mul_f32_e32 v25, 0x3ec3ef15, v25
	v_pk_fma_f32 v[20:21], v[20:21], 2.0, v[56:57] op_sel_hi:[1,0,1] neg_lo:[0,0,1] neg_hi:[0,0,1]
	v_mov_b32_e32 v24, v34
	v_pk_add_f32 v[24:25], v[20:21], v[24:25] neg_lo:[0,1] neg_hi:[0,1]
	v_mov_b32_e32 v8, v30
	v_pk_add_f32 v[8:9], v[24:25], v[8:9] neg_lo:[0,1] neg_hi:[0,1]
	v_mov_b32_e32 v25, v1
	v_mul_f32_e32 v33, 0x3f6c835e, v61
	v_lshl_add_u32 v16, v48, 6, 0
	v_pk_fma_f32 v[22:23], v[22:23], 2.0, v[28:29] op_sel_hi:[1,0,1] neg_lo:[0,0,1] neg_hi:[0,0,1]
	v_pk_fma_f32 v[20:21], v[20:21], 2.0, v[8:9] op_sel_hi:[1,0,1] neg_lo:[0,0,1] neg_hi:[0,0,1]
	v_fmac_f32_e32 v25, 0x3ec3ef15, v37
	v_mov_b32_e32 v24, v0
	ds_write2_b64 v16, v[22:23], v[20:21] offset1:1
	v_pk_add_f32 v[20:21], v[24:25], v[32:33] neg_lo:[0,1] neg_hi:[0,1]
	v_mov_b32_e32 v54, v2
	v_pk_fma_f32 v[22:23], v[0:1], 2.0, v[20:21] op_sel_hi:[1,0,1] neg_lo:[0,0,1] neg_hi:[0,0,1]
	v_pk_add_f32 v[0:1], v[56:57], v[54:55]
	v_mov_b32_e32 v18, v38
	v_pk_add_f32 v[0:1], v[0:1], v[18:19] neg_lo:[0,1] neg_hi:[0,1]
	s_movk_i32 s0, 0xffc4
	v_pk_fma_f32 v[18:19], v[56:57], 2.0, v[0:1] op_sel_hi:[1,0,1] neg_lo:[0,0,1] neg_hi:[0,0,1]
	v_mad_i32_i24 v13, v48, s0, v16
	s_load_dwordx2 s[4:5], s[4:5], 0x0
	ds_write2_b64 v16, v[22:23], v[18:19] offset0:2 offset1:3
	ds_write2_b64 v16, v[28:29], v[8:9] offset0:4 offset1:5
	;; [unrolled: 1-line block ×3, first 2 shown]
	v_add_u32_e32 v20, 0x800, v13
	v_lshl_add_u32 v33, v49, 2, 0
	v_add_u32_e32 v21, 0x400, v13
	v_mul_f32_e32 v15, 0x3f3504f3, v60
	s_waitcnt lgkmcnt(0)
	; wave barrier
	s_waitcnt lgkmcnt(0)
	ds_read2st64_b32 v[8:9], v13 offset1:4
	ds_read2_b32 v[18:19], v20 offset1:48
	v_lshl_add_u32 v47, v50, 2, 0
	v_lshl_add_u32 v54, v51, 2, 0
	;; [unrolled: 1-line block ×3, first 2 shown]
	ds_read_b32 v60, v33
	ds_read_b32 v59, v47
	;; [unrolled: 1-line block ×4, first 2 shown]
	ds_read_b32 v62, v13 offset:2816
	ds_read2_b32 v[22:23], v20 offset0:96 offset1:144
	ds_read2_b32 v[28:29], v21 offset0:48 offset1:96
	;; [unrolled: 1-line block ×3, first 2 shown]
	v_mul_i32_i24_e32 v11, 0xffffffc4, v48
	v_cmp_gt_u32_e64 s[0:1], 16, v48
	v_add_u32_e32 v56, v16, v11
	v_lshl_add_u32 v57, v53, 2, 0
	v_mul_f32_e32 v13, 0x3f3504f3, v68
                                        ; implicit-def: $vgpr25
	s_and_saveexec_b64 s[6:7], s[0:1]
	s_cbranch_execz .LBB0_15
; %bb.14:
	v_add_u32_e32 v11, 0xc0, v56
	ds_read_b32 v1, v57
	ds_read2st64_b32 v[24:25], v11 offset0:7 offset1:11
.LBB0_15:
	s_or_b64 exec, exec, s[6:7]
	v_pk_mul_f32 v[26:27], v[36:37], v[26:27]
	v_mov_b32_e32 v11, v27
	v_pk_add_f32 v[26:27], v[40:41], v[42:43] neg_lo:[0,1] neg_hi:[0,1]
	v_pk_add_f32 v[36:37], v[40:41], v[42:43]
	v_mov_b32_e32 v27, v37
	v_mov_b32_e32 v41, v12
	v_pk_fma_f32 v[40:41], v[40:41], 2.0, v[26:27] op_sel_hi:[1,0,1] neg_lo:[0,0,1] neg_hi:[0,0,1]
	v_fma_f32 v12, v46, 2.0, -v44
	v_sub_f32_e32 v43, v41, v17
	v_mov_b32_e32 v42, v40
	v_pk_add_f32 v[66:67], v[40:41], v[12:13] neg_lo:[0,1] neg_hi:[0,1]
	v_pk_add_f32 v[12:13], v[42:43], v[12:13]
	v_mov_b32_e32 v67, v13
	v_pk_add_f32 v[36:37], v[36:37], v[44:45]
	v_pk_fma_f32 v[40:41], v[40:41], 2.0, v[66:67] op_sel_hi:[1,0,1] neg_lo:[0,0,1] neg_hi:[0,0,1]
	v_mov_b32_e32 v36, v26
	v_pk_add_f32 v[14:15], v[36:37], v[14:15]
	v_mov_b32_e32 v37, v41
	v_fma_f32 v64, v64, 2.0, -v32
	v_mul_f32_e32 v65, 0x3ec3ef15, v65
	v_pk_fma_f32 v[26:27], v[26:27], 2.0, v[14:15] op_sel_hi:[1,0,1] neg_lo:[0,0,1] neg_hi:[0,0,1]
	v_fmac_f32_e32 v37, 0xbf6c835e, v63
	v_mov_b32_e32 v36, v40
	v_pk_add_f32 v[30:31], v[26:27], v[30:31] neg_lo:[0,1] neg_hi:[0,1]
	v_fmac_f32_e32 v13, 0x3ec3ef15, v61
	v_pk_add_f32 v[42:43], v[40:41], v[64:65] neg_lo:[0,1] neg_hi:[0,1]
	v_pk_add_f32 v[36:37], v[36:37], v[64:65]
	v_mov_b32_e32 v12, v66
	v_mov_b32_e32 v43, v37
	v_pk_add_f32 v[30:31], v[34:35], v[30:31]
	v_pk_add_f32 v[10:11], v[12:13], v[10:11]
	;; [unrolled: 1-line block ×3, first 2 shown]
	v_pk_fma_f32 v[40:41], v[40:41], 2.0, v[42:43] op_sel_hi:[1,0,1] neg_lo:[0,0,1] neg_hi:[0,0,1]
	v_pk_fma_f32 v[26:27], v[26:27], 2.0, v[30:31] op_sel_hi:[1,0,1] neg_lo:[0,0,1] neg_hi:[0,0,1]
	;; [unrolled: 1-line block ×3, first 2 shown]
	v_pk_add_f32 v[2:3], v[2:3], v[34:35]
	v_pk_fma_f32 v[14:15], v[14:15], 2.0, v[2:3] op_sel_hi:[1,0,1] neg_lo:[0,0,1] neg_hi:[0,0,1]
	s_waitcnt lgkmcnt(0)
	; wave barrier
	s_waitcnt lgkmcnt(0)
	ds_write2_b64 v16, v[40:41], v[26:27] offset1:1
	ds_write2_b64 v16, v[12:13], v[14:15] offset0:2 offset1:3
	ds_write2_b64 v16, v[42:43], v[30:31] offset0:4 offset1:5
	;; [unrolled: 1-line block ×3, first 2 shown]
	v_add_u32_e32 v2, 0x800, v56
	v_add_u32_e32 v12, 0x400, v56
	s_waitcnt lgkmcnt(0)
	; wave barrier
	s_waitcnt lgkmcnt(0)
	ds_read2st64_b32 v[10:11], v56 offset1:4
	ds_read2_b32 v[26:27], v2 offset1:48
	ds_read2_b32 v[30:31], v12 offset0:48 offset1:96
	ds_read2_b32 v[14:15], v2 offset0:96 offset1:144
	;; [unrolled: 1-line block ×3, first 2 shown]
	ds_read_b32 v35, v33
	ds_read_b32 v34, v47
	ds_read_b32 v32, v54
	ds_read_b32 v2, v55
	ds_read_b32 v64, v56 offset:2816
                                        ; implicit-def: $vgpr17
	s_and_saveexec_b64 s[6:7], s[0:1]
	s_cbranch_execz .LBB0_17
; %bb.16:
	v_add_u32_e32 v16, 0xc0, v56
	ds_read_b32 v3, v57
	ds_read2st64_b32 v[16:17], v16 offset0:7 offset1:11
.LBB0_17:
	s_or_b64 exec, exec, s[6:7]
	v_lshlrev_b32_e32 v36, 4, v48
	v_and_b32_e32 v36, 0xf0, v36
	v_and_b32_e32 v65, 15, v48
	global_load_dwordx2 v[66:67], v36, s[12:13]
	global_load_dwordx2 v[68:69], v36, s[12:13] offset:8
	global_load_dwordx2 v[70:71], v36, s[12:13] offset:4
	global_load_dword v43, v36, s[12:13] offset:12
	v_lshlrev_b32_e32 v36, 4, v65
	global_load_dword v72, v36, s[12:13]
	s_waitcnt lgkmcnt(0)
	; wave barrier
	s_waitcnt vmcnt(4) lgkmcnt(0)
	v_mul_f32_e32 v73, v30, v67
	s_waitcnt vmcnt(3)
	v_mul_f32_e32 v53, v18, v69
	v_mul_f32_e32 v74, v27, v69
	;; [unrolled: 1-line block ×9, first 2 shown]
	s_waitcnt vmcnt(2)
	v_fmac_f32_e32 v53, v26, v71
	s_waitcnt vmcnt(0)
	v_fma_f32 v26, v28, v72, -v73
	v_fma_f32 v28, v19, v71, -v74
	v_mul_f32_e32 v46, v9, v67
	v_mul_f32_e32 v45, v19, v69
	;; [unrolled: 1-line block ×13, first 2 shown]
	v_fma_f32 v61, v9, v72, -v61
	v_fma_f32 v19, v29, v72, -v75
	;; [unrolled: 1-line block ×3, first 2 shown]
	v_fmac_f32_e32 v38, v12, v72
	v_fma_f32 v12, v21, v72, -v79
	v_add_f32_e32 v21, v26, v28
	v_mul_f32_e32 v43, v25, v43
	v_fmac_f32_e32 v46, v11, v72
	v_fma_f32 v63, v18, v71, -v63
	v_fmac_f32_e32 v44, v30, v72
	v_fmac_f32_e32 v45, v27, v71
	;; [unrolled: 1-line block ×3, first 2 shown]
	v_fma_f32 v14, v20, v72, -v77
	v_fma_f32 v18, v23, v71, -v78
	v_fmac_f32_e32 v39, v15, v71
	v_fma_f32 v11, v25, v68, -v70
	v_add_f32_e32 v15, v8, v61
	v_add_f32_e32 v20, v60, v26
	;; [unrolled: 1-line block ×3, first 2 shown]
	v_fmac_f32_e32 v60, -0.5, v21
	v_fmac_f32_e32 v36, v13, v72
	v_fma_f32 v13, v62, v71, -v67
	v_fma_f32 v9, v24, v66, -v69
	v_sub_f32_e32 v23, v44, v45
	v_add_f32_e32 v24, v59, v19
	v_add_f32_e32 v30, v14, v18
	;; [unrolled: 1-line block ×3, first 2 shown]
	v_fmac_f32_e32 v59, -0.5, v25
	v_mov_b32_e32 v25, v60
	v_add_f32_e32 v15, v0, v12
	v_add_f32_e32 v29, v58, v14
	v_fmac_f32_e32 v58, -0.5, v30
	v_fmac_f32_e32 v60, 0xbf5db3d7, v23
	v_fmac_f32_e32 v25, 0x3f5db3d7, v23
	v_add_f32_e32 v23, v15, v13
	v_add_f32_e32 v15, v12, v13
	v_fmac_f32_e32 v40, v31, v72
	v_fmac_f32_e32 v37, v64, v71
	v_sub_f32_e32 v31, v38, v39
	v_mov_b32_e32 v30, v58
	v_fmac_f32_e32 v0, -0.5, v15
	v_fmac_f32_e32 v30, 0x3f5db3d7, v31
	v_fmac_f32_e32 v58, 0xbf5db3d7, v31
	v_sub_f32_e32 v15, v36, v37
	v_mov_b32_e32 v31, v0
	v_fmac_f32_e32 v42, v16, v66
	v_add_f32_e32 v16, v61, v63
	v_fmac_f32_e32 v31, 0x3f5db3d7, v15
	v_fmac_f32_e32 v0, 0xbf5db3d7, v15
	v_lshrrev_b32_e32 v15, 4, v48
	v_fmac_f32_e32 v8, -0.5, v16
	v_mul_u32_u24_e32 v15, 48, v15
	v_fmac_f32_e32 v43, v17, v68
	v_sub_f32_e32 v17, v46, v53
	v_add_f32_e32 v16, v20, v28
	v_add_f32_e32 v20, v24, v22
	v_mov_b32_e32 v24, v8
	v_or_b32_e32 v15, v15, v65
	v_fmac_f32_e32 v8, 0xbf5db3d7, v17
	v_fmac_f32_e32 v24, 0x3f5db3d7, v17
	v_lshl_add_u32 v15, v15, 2, 0
	ds_write2_b32 v15, v62, v24 offset1:16
	ds_write_b32 v15, v8 offset:128
	v_lshrrev_b32_e32 v8, 4, v49
	v_mul_lo_u32 v8, v8, 48
	v_or_b32_e32 v8, v8, v65
	v_lshl_add_u32 v8, v8, 2, 0
	ds_write2_b32 v8, v16, v25 offset1:16
	ds_write_b32 v8, v60 offset:128
	v_lshrrev_b32_e32 v16, 4, v50
	v_mul_lo_u32 v16, v16, 48
	v_sub_f32_e32 v27, v40, v41
	v_add_f32_e32 v21, v29, v18
	v_mov_b32_e32 v29, v59
	v_or_b32_e32 v16, v16, v65
	v_fmac_f32_e32 v29, 0x3f5db3d7, v27
	v_lshl_add_u32 v16, v16, 2, 0
	v_fmac_f32_e32 v59, 0xbf5db3d7, v27
	ds_write2_b32 v16, v20, v29 offset1:16
	ds_write_b32 v16, v59 offset:128
	v_lshrrev_b32_e32 v17, 4, v51
	v_lshrrev_b32_e32 v20, 4, v52
	v_mul_lo_u32 v17, v17, 48
	v_mul_lo_u32 v20, v20, 48
	v_or_b32_e32 v17, v17, v65
	v_or_b32_e32 v20, v20, v65
	v_lshl_add_u32 v17, v17, 2, 0
	v_lshl_add_u32 v27, v20, 2, 0
	ds_write2_b32 v17, v21, v30 offset1:16
	ds_write_b32 v17, v58 offset:128
	ds_write2_b32 v27, v23, v31 offset1:16
	ds_write_b32 v27, v0 offset:128
	v_lshl_add_u32 v0, v48, 2, 0
	s_and_saveexec_b64 s[6:7], s[0:1]
	s_cbranch_execz .LBB0_19
; %bb.18:
	v_add_f32_e32 v20, v9, v11
	v_fma_f32 v20, -0.5, v20, v1
	v_sub_f32_e32 v21, v42, v43
	v_mov_b32_e32 v23, v20
	v_add_f32_e32 v1, v1, v9
	v_fmac_f32_e32 v23, 0xbf5db3d7, v21
	v_fmac_f32_e32 v20, 0x3f5db3d7, v21
	v_add_f32_e32 v1, v1, v11
	v_add_u32_e32 v21, 0x800, v0
	ds_write2_b32 v21, v1, v20 offset0:208 offset1:224
	ds_write_b32 v0, v23 offset:3008
.LBB0_19:
	s_or_b64 exec, exec, s[6:7]
	v_add_f32_e32 v20, v46, v53
	v_add_f32_e32 v1, v10, v46
	v_fmac_f32_e32 v10, -0.5, v20
	v_sub_f32_e32 v20, v61, v63
	v_mov_b32_e32 v30, v10
	v_fmac_f32_e32 v30, 0xbf5db3d7, v20
	v_fmac_f32_e32 v10, 0x3f5db3d7, v20
	v_add_f32_e32 v20, v35, v44
	v_add_f32_e32 v31, v20, v45
	;; [unrolled: 1-line block ×3, first 2 shown]
	v_fmac_f32_e32 v35, -0.5, v20
	v_sub_f32_e32 v20, v26, v28
	v_mov_b32_e32 v44, v35
	v_fmac_f32_e32 v44, 0xbf5db3d7, v20
	v_fmac_f32_e32 v35, 0x3f5db3d7, v20
	v_add_f32_e32 v20, v34, v40
	v_add_f32_e32 v45, v20, v41
	;; [unrolled: 1-line block ×3, first 2 shown]
	v_fmac_f32_e32 v34, -0.5, v20
	v_sub_f32_e32 v19, v19, v22
	v_mov_b32_e32 v46, v34
	v_add_f32_e32 v20, v38, v39
	v_fmac_f32_e32 v46, 0xbf5db3d7, v19
	v_fmac_f32_e32 v34, 0x3f5db3d7, v19
	v_add_f32_e32 v19, v32, v38
	v_fmac_f32_e32 v32, -0.5, v20
	v_sub_f32_e32 v14, v14, v18
	v_mov_b32_e32 v18, v32
	v_add_f32_e32 v20, v36, v37
	v_fmac_f32_e32 v18, 0xbf5db3d7, v14
	v_fmac_f32_e32 v32, 0x3f5db3d7, v14
	v_add_f32_e32 v14, v2, v36
	v_fmac_f32_e32 v2, -0.5, v20
	v_sub_f32_e32 v12, v12, v13
	v_mov_b32_e32 v13, v2
	s_waitcnt lgkmcnt(0)
	; wave barrier
	s_waitcnt lgkmcnt(0)
	ds_read_b32 v25, v33
	ds_read_b32 v20, v47
	ds_read_b32 v24, v54
	ds_read_b32 v26, v57
	ds_read_b32 v21, v56
	ds_read_b32 v63, v55
	v_fmac_f32_e32 v13, 0xbf5db3d7, v12
	v_fmac_f32_e32 v2, 0x3f5db3d7, v12
	v_add_u32_e32 v12, 0x400, v56
	ds_read2_b32 v[40:41], v12 offset0:32 offset1:80
	ds_read2_b32 v[22:23], v12 offset0:128 offset1:176
	v_add_u32_e32 v12, 0x600, v56
	v_add_f32_e32 v19, v19, v39
	ds_read2_b32 v[38:39], v12 offset0:96 offset1:144
	v_add_u32_e32 v12, 0x800, v56
	v_add_f32_e32 v14, v14, v37
	ds_read2_b32 v[36:37], v12 offset0:64 offset1:112
	ds_read2_b32 v[28:29], v12 offset0:160 offset1:208
	v_add_f32_e32 v1, v1, v53
	s_waitcnt lgkmcnt(0)
	; wave barrier
	s_waitcnt lgkmcnt(0)
	ds_write2_b32 v15, v1, v30 offset1:16
	ds_write_b32 v15, v10 offset:128
	ds_write2_b32 v8, v31, v44 offset1:16
	ds_write_b32 v8, v35 offset:128
	;; [unrolled: 2-line block ×5, first 2 shown]
	s_and_saveexec_b64 s[6:7], s[0:1]
	s_cbranch_execz .LBB0_21
; %bb.20:
	v_add_f32_e32 v2, v42, v43
	v_add_f32_e32 v1, v3, v42
	v_fmac_f32_e32 v3, -0.5, v2
	v_sub_f32_e32 v2, v9, v11
	v_mov_b32_e32 v8, v3
	v_add_f32_e32 v1, v1, v43
	v_fmac_f32_e32 v8, 0xbf5db3d7, v2
	v_fmac_f32_e32 v3, 0x3f5db3d7, v2
	v_add_u32_e32 v2, 0x800, v0
	ds_write2_b32 v2, v1, v8 offset0:208 offset1:224
	ds_write_b32 v0, v3 offset:3008
.LBB0_21:
	s_or_b64 exec, exec, s[6:7]
	s_waitcnt lgkmcnt(0)
	; wave barrier
	s_waitcnt lgkmcnt(0)
	s_and_saveexec_b64 s[0:1], vcc
	s_cbranch_execz .LBB0_23
; %bb.22:
	v_mul_u32_u24_e32 v0, 15, v48
	v_lshlrev_b32_e32 v27, 3, v0
	global_load_dwordx4 v[0:3], v27, s[12:13] offset:256
	v_mul_lo_u32 v8, s5, v6
	v_mul_lo_u32 v7, s4, v7
	v_mad_u64_u32 v[30:31], s[0:1], s4, v6, 0
	v_add_u32_e32 v6, 0x600, v56
	v_add_u32_e32 v9, 0x400, v56
	;; [unrolled: 1-line block ×3, first 2 shown]
	ds_read_b32 v79, v55
	ds_read_b32 v52, v54
	;; [unrolled: 1-line block ×6, first 2 shown]
	v_lshlrev_b64 v[34:35], 3, v[4:5]
	v_add3_u32 v31, v31, v7, v8
	ds_read2_b32 v[92:93], v6 offset0:96 offset1:144
	ds_read2_b32 v[94:95], v9 offset0:32 offset1:80
	;; [unrolled: 1-line block ×5, first 2 shown]
	global_load_dwordx4 v[8:11], v27, s[12:13] offset:304
	global_load_dwordx4 v[84:87], v27, s[12:13] offset:288
	;; [unrolled: 1-line block ×3, first 2 shown]
	global_load_dwordx2 v[76:77], v27, s[12:13] offset:368
	global_load_dwordx4 v[88:91], v27, s[12:13] offset:352
	global_load_dwordx4 v[4:7], v27, s[12:13] offset:320
	;; [unrolled: 1-line block ×3, first 2 shown]
	v_mad_u64_u32 v[32:33], s[0:1], s2, v80, 0
	v_add_u32_e32 v58, 48, v80
	v_lshlrev_b64 v[30:31], 3, v[30:31]
	v_mov_b32_e32 v57, s11
	v_add_u32_e32 v59, 0x60, v80
	v_mov_b32_e32 v42, v33
	v_mad_u64_u32 v[44:45], s[0:1], s2, v58, 0
	v_add_co_u32_e32 v27, vcc, s10, v30
	v_mad_u64_u32 v[46:47], s[0:1], s2, v59, 0
	v_mad_u64_u32 v[42:43], s[0:1], s3, v80, v[42:43]
	v_mov_b32_e32 v48, v45
	v_addc_co_u32_e32 v45, vcc, v57, v31, vcc
	v_mov_b32_e32 v54, v47
	v_mov_b32_e32 v33, v42
	v_add_co_u32_e32 v81, vcc, v27, v34
	s_waitcnt lgkmcnt(6)
	v_mad_u64_u32 v[30:31], s[0:1], s3, v58, v[48:49]
	v_mad_u64_u32 v[42:43], s[0:1], s3, v59, v[54:55]
	v_addc_co_u32_e32 v82, vcc, v45, v35, vcc
	v_lshlrev_b64 v[32:33], 3, v[32:33]
	v_mov_b32_e32 v45, v30
	v_mov_b32_e32 v47, v42
	v_add_co_u32_e32 v30, vcc, v81, v32
	v_addc_co_u32_e32 v31, vcc, v82, v33, vcc
	v_lshlrev_b64 v[32:33], 3, v[44:45]
	v_add_u32_e32 v60, 0x90, v80
	v_mad_u64_u32 v[50:51], s[0:1], s2, v60, 0
	v_mov_b32_e32 v56, v51
	v_lshlrev_b64 v[34:35], 3, v[46:47]
	s_waitcnt lgkmcnt(3)
	v_mov_b32_e32 v78, v94
	s_waitcnt lgkmcnt(2)
	v_mov_b32_e32 v106, v74
	;; [unrolled: 2-line block ×3, first 2 shown]
	v_mov_b32_e32 v73, v95
	v_mov_b32_e32 v74, v97
	v_add_co_u32_e32 v32, vcc, v81, v32
	v_addc_co_u32_e32 v33, vcc, v82, v33, vcc
	v_add_co_u32_e32 v34, vcc, v81, v34
	v_addc_co_u32_e32 v35, vcc, v82, v35, vcc
	s_mov_b32 s4, 0x3ec3ef15
	s_mov_b32 s6, 0x3f6c835e
	s_waitcnt vmcnt(7)
	v_mul_f32_e32 v27, v55, v3
	v_mul_f32_e32 v48, v20, v3
	v_fma_f32 v20, v20, v2, -v27
	v_or_b32_e32 v27, 0xc0, v80
	v_mad_u64_u32 v[42:43], s[0:1], s2, v27, 0
	v_mov_b32_e32 v44, v43
	v_mad_u64_u32 v[44:45], s[0:1], s3, v27, v[44:45]
	v_add_u32_e32 v27, 0xf0, v80
	v_mov_b32_e32 v43, v44
	v_mad_u64_u32 v[44:45], s[0:1], s2, v27, 0
	v_mov_b32_e32 v46, v45
	v_fmac_f32_e32 v48, v2, v55
	v_mad_u64_u32 v[2:3], s[0:1], s3, v60, v[56:57]
	v_mad_u64_u32 v[46:47], s[0:1], s3, v27, v[46:47]
	v_add_u32_e32 v27, 0x120, v80
	v_mov_b32_e32 v51, v2
	v_mov_b32_e32 v45, v46
	v_mad_u64_u32 v[46:47], s[0:1], s2, v27, 0
	v_lshlrev_b64 v[2:3], 3, v[50:51]
	v_mov_b32_e32 v50, v47
	v_mad_u64_u32 v[50:51], s[0:1], s3, v27, v[50:51]
	v_add_u32_e32 v27, 0x150, v80
	v_mov_b32_e32 v47, v50
	v_mad_u64_u32 v[50:51], s[0:1], s2, v27, 0
	v_mov_b32_e32 v54, v51
	v_mad_u64_u32 v[54:55], s[0:1], s3, v27, v[54:55]
	v_or_b32_e32 v27, 0x180, v80
	v_mov_b32_e32 v51, v54
	v_mad_u64_u32 v[54:55], s[0:1], s2, v27, 0
	v_mov_b32_e32 v56, v55
	v_mad_u64_u32 v[56:57], s[0:1], s3, v27, v[56:57]
	v_add_u32_e32 v27, 0x1b0, v80
	v_mov_b32_e32 v55, v56
	v_mad_u64_u32 v[56:57], s[0:1], s2, v27, 0
	v_mov_b32_e32 v58, v57
	v_mad_u64_u32 v[58:59], s[0:1], s3, v27, v[58:59]
	v_add_u32_e32 v27, 0x1e0, v80
	;; [unrolled: 5-line block ×3, first 2 shown]
	v_mov_b32_e32 v59, v60
	v_mad_u64_u32 v[60:61], s[0:1], s2, v27, 0
	v_mov_b32_e32 v62, v61
	v_mad_u64_u32 v[64:65], s[0:1], s3, v27, v[62:63]
	v_or_b32_e32 v27, 0x240, v80
	v_mov_b32_e32 v61, v64
	v_mad_u64_u32 v[64:65], s[0:1], s2, v27, 0
	v_mov_b32_e32 v62, v65
	v_mad_u64_u32 v[66:67], s[0:1], s3, v27, v[62:63]
	v_add_u32_e32 v27, 0x270, v80
	v_mov_b32_e32 v65, v66
	v_mad_u64_u32 v[66:67], s[0:1], s2, v27, 0
	v_mov_b32_e32 v62, v67
	v_mad_u64_u32 v[70:71], s[0:1], s3, v27, v[62:63]
	v_add_u32_e32 v27, 0x2a0, v80
	v_mov_b32_e32 v67, v70
	v_mad_u64_u32 v[70:71], s[0:1], s2, v27, 0
	v_mov_b32_e32 v62, v71
	v_mad_u64_u32 v[98:99], s[0:1], s3, v27, v[62:63]
	s_waitcnt vmcnt(4)
	v_mov_b32_e32 v103, v18
	v_mov_b32_e32 v62, v40
	;; [unrolled: 1-line block ×4, first 2 shown]
	v_pk_mul_f32 v[86:87], v[62:63], v[18:19]
	v_pk_mul_f32 v[18:19], v[78:79], v[18:19]
	s_waitcnt vmcnt(0)
	v_mov_b32_e32 v105, v14
	v_pk_fma_f32 v[18:19], v[62:63], v[102:103], v[18:19] neg_lo:[0,0,1] neg_hi:[0,0,1]
	v_mov_b32_e32 v62, v28
	v_mov_b32_e32 v63, v36
	;; [unrolled: 1-line block ×3, first 2 shown]
	v_pk_fma_f32 v[86:87], v[102:103], v[78:79], v[86:87]
	v_mov_b32_e32 v104, v90
	v_pk_mul_f32 v[78:79], v[62:63], v[14:15]
	v_pk_mul_f32 v[14:15], v[106:107], v[14:15]
	v_mov_b32_e32 v71, v98
	v_mov_b32_e32 v98, v38
	v_mov_b32_e32 v99, v22
	v_mov_b32_e32 v101, v10
	v_pk_fma_f32 v[14:15], v[62:63], v[104:105], v[14:15] neg_lo:[0,0,1] neg_hi:[0,0,1]
	v_mov_b32_e32 v62, v92
	s_waitcnt lgkmcnt(0)
	v_mov_b32_e32 v63, v68
	v_mov_b32_e32 v10, v7
	;; [unrolled: 1-line block ×3, first 2 shown]
	v_pk_mul_f32 v[6:7], v[62:63], v[10:11]
	v_pk_mul_f32 v[10:11], v[98:99], v[10:11]
	v_pk_fma_f32 v[10:11], v[62:63], v[100:101], v[10:11]
	v_pk_add_f32 v[14:15], v[18:19], v[14:15] neg_lo:[0,1] neg_hi:[0,1]
	v_pk_add_f32 v[10:11], v[48:49], v[10:11] neg_lo:[0,1] neg_hi:[0,1]
	v_mov_b32_e32 v91, v0
	v_mov_b32_e32 v0, v17
	;; [unrolled: 1-line block ×4, first 2 shown]
	v_pk_fma_f32 v[6:7], v[98:99], v[100:101], v[6:7] neg_lo:[0,0,1] neg_hi:[0,0,1]
	v_mov_b32_e32 v90, v16
	v_pk_add_f32 v[16:17], v[16:17], v[26:27]
	v_mov_b32_e32 v99, v4
	v_mov_b32_e32 v4, v13
	;; [unrolled: 1-line block ×6, first 2 shown]
	v_pk_mul_f32 v[40:41], v[26:27], v[8:9]
	v_pk_mul_f32 v[8:9], v[72:73], v[8:9]
	v_mov_b32_e32 v12, v84
	v_mov_b32_e32 v22, v39
	;; [unrolled: 1-line block ×3, first 2 shown]
	v_pk_fma_f32 v[40:41], v[72:73], v[12:13], v[40:41]
	v_pk_mul_f32 v[72:73], v[52:53], v[0:1]
	v_pk_fma_f32 v[8:9], v[26:27], v[12:13], v[8:9] neg_lo:[0,0,1] neg_hi:[0,0,1]
	v_mov_b32_e32 v13, v76
	v_mov_b32_e32 v28, v37
	;; [unrolled: 1-line block ×3, first 2 shown]
	v_pk_mul_f32 v[38:39], v[68:69], v[4:5]
	v_pk_mul_f32 v[0:1], v[24:25], v[0:1]
	;; [unrolled: 1-line block ×3, first 2 shown]
	v_mov_b32_e32 v12, v88
	v_pk_mul_f32 v[26:27], v[28:29], v[76:77]
	v_pk_mul_f32 v[36:37], v[74:75], v[76:77]
	v_pk_fma_f32 v[0:1], v[90:91], v[52:53], v[0:1]
	v_pk_fma_f32 v[4:5], v[98:99], v[68:69], v[4:5]
	;; [unrolled: 1-line block ×3, first 2 shown]
	v_pk_fma_f32 v[72:73], v[24:25], v[90:91], v[72:73] neg_lo:[0,0,1] neg_hi:[0,0,1]
	v_pk_fma_f32 v[26:27], v[74:75], v[12:13], v[26:27]
	v_pk_fma_f32 v[38:39], v[22:23], v[98:99], v[38:39] neg_lo:[0,0,1] neg_hi:[0,0,1]
	v_pk_fma_f32 v[12:13], v[28:29], v[12:13], v[36:37] neg_lo:[0,0,1] neg_hi:[0,0,1]
	v_pk_add_f32 v[4:5], v[0:1], v[4:5] neg_lo:[0,1] neg_hi:[0,1]
	v_pk_add_f32 v[6:7], v[20:21], v[6:7] neg_lo:[0,1] neg_hi:[0,1]
	;; [unrolled: 1-line block ×6, first 2 shown]
	v_mov_b32_e32 v23, v4
	v_pk_add_f32 v[94:95], v[14:15], v[10:11]
	v_mov_b32_e32 v16, v27
	v_mov_b32_e32 v25, v12
	v_pk_add_f32 v[22:23], v[22:23], v[12:13]
	v_pk_fma_f32 v[20:21], v[20:21], 2.0, v[6:7] op_sel_hi:[1,0,1] neg_lo:[0,0,1] neg_hi:[0,0,1]
	v_pk_fma_f32 v[14:15], v[18:19], 2.0, v[14:15] op_sel_hi:[1,0,1] neg_lo:[0,0,1] neg_hi:[0,0,1]
	;; [unrolled: 1-line block ×8, first 2 shown]
	v_pk_add_f32 v[28:29], v[38:39], v[16:17] neg_lo:[0,1] neg_hi:[0,1]
	v_mov_b32_e32 v16, v39
	v_pk_add_f32 v[14:15], v[20:21], v[14:15] neg_lo:[0,1] neg_hi:[0,1]
	v_pk_add_f32 v[48:49], v[18:19], v[48:49] neg_lo:[0,1] neg_hi:[0,1]
	v_pk_add_f32 v[8:9], v[72:73], v[8:9] op_sel:[0,1] op_sel_hi:[1,0] neg_lo:[0,1] neg_hi:[0,1]
	v_pk_add_f32 v[12:13], v[0:1], v[12:13] op_sel:[1,0] op_sel_hi:[0,1] neg_lo:[0,1] neg_hi:[0,1]
	v_pk_add_f32 v[36:37], v[16:17], v[26:27] neg_lo:[0,1] neg_hi:[0,1]
	v_pk_add_f32 v[52:53], v[14:15], v[48:49] op_sel:[0,1] op_sel_hi:[1,0] neg_lo:[0,1] neg_hi:[0,1]
	v_pk_add_f32 v[68:69], v[14:15], v[48:49] op_sel:[0,1] op_sel_hi:[1,0]
	v_pk_add_f32 v[26:27], v[8:9], v[12:13] neg_lo:[0,1] neg_hi:[0,1]
	v_pk_add_f32 v[40:41], v[8:9], v[12:13]
	v_pk_add_f32 v[62:63], v[6:7], v[78:79] neg_lo:[0,1] neg_hi:[0,1]
	v_mov_b32_e32 v69, v53
	v_mov_b32_e32 v41, v27
	s_mov_b32 s0, 0x3f3504f3
	v_pk_add_f32 v[24:25], v[4:5], v[24:25]
	v_pk_mul_f32 v[74:75], v[40:41], s[0:1] op_sel_hi:[1,0]
	v_pk_fma_f32 v[76:77], v[40:41], s[0:1], v[68:69] op_sel_hi:[1,0,1]
	v_mov_b32_e32 v26, v27
	v_mov_b32_e32 v27, v40
	;; [unrolled: 1-line block ×7, first 2 shown]
	v_pk_fma_f32 v[40:41], v[40:41], 2.0, v[16:17] op_sel_hi:[1,0,1] neg_lo:[0,0,1] neg_hi:[0,0,1]
	v_pk_fma_f32 v[6:7], v[10:11], 2.0, v[94:95] op_sel_hi:[1,0,1] neg_lo:[0,0,1] neg_hi:[0,0,1]
	v_mov_b32_e32 v62, v38
	v_mov_b32_e32 v63, v4
	;; [unrolled: 1-line block ×5, first 2 shown]
	v_pk_add_f32 v[78:79], v[76:77], v[74:75] op_sel:[0,1] op_sel_hi:[1,0] neg_lo:[0,1] neg_hi:[0,1]
	v_pk_add_f32 v[74:75], v[76:77], v[74:75] op_sel:[0,1] op_sel_hi:[1,0]
	v_pk_mul_f32 v[76:77], v[40:41], s[0:1] op_sel_hi:[1,0]
	v_pk_fma_f32 v[10:11], v[40:41], s[0:1], v[6:7] op_sel_hi:[1,0,1] neg_lo:[1,0,0] neg_hi:[1,0,0]
	v_pk_fma_f32 v[22:23], v[62:63], 2.0, v[28:29] op_sel_hi:[1,0,1] neg_lo:[0,0,1] neg_hi:[0,0,1]
	v_pk_fma_f32 v[4:5], v[4:5], 2.0, v[36:37] op_sel_hi:[1,0,1] neg_lo:[0,0,1] neg_hi:[0,0,1]
	v_add_co_u32_e32 v2, vcc, v81, v2
	v_pk_add_f32 v[40:41], v[10:11], v[76:77] op_sel:[0,1] op_sel_hi:[1,0] neg_lo:[0,1] neg_hi:[0,1]
	v_pk_add_f32 v[10:11], v[10:11], v[76:77] op_sel:[0,1] op_sel_hi:[1,0]
	v_pk_mul_f32 v[62:63], v[22:23], s[0:1] op_sel_hi:[1,0]
	v_pk_fma_f32 v[22:23], v[22:23], s[0:1], v[4:5] op_sel_hi:[1,0,1] neg_lo:[1,0,0] neg_hi:[1,0,0]
	v_addc_co_u32_e32 v3, vcc, v82, v3, vcc
	v_lshlrev_b64 v[42:43], 3, v[42:43]
	v_pk_add_f32 v[24:25], v[22:23], v[62:63] op_sel:[0,1] op_sel_hi:[1,0] neg_lo:[0,1] neg_hi:[0,1]
	v_pk_add_f32 v[22:23], v[22:23], v[62:63] op_sel:[0,1] op_sel_hi:[1,0]
	v_fma_f32 v7, v7, 2.0, -v11
	v_add_co_u32_e32 v42, vcc, v81, v42
	v_mov_b32_e32 v41, v11
	v_fma_f32 v11, v5, 2.0, -v23
	v_mov_b32_e32 v5, v7
	v_fma_f32 v6, v6, 2.0, -v40
	v_addc_co_u32_e32 v43, vcc, v82, v43, vcc
	v_lshlrev_b64 v[44:45], 3, v[44:45]
	v_fma_f32 v10, v4, 2.0, -v24
	v_fmac_f32_e32 v5, 0xbf6c835e, v11
	v_mov_b32_e32 v4, v6
	v_add_co_u32_e32 v44, vcc, v81, v44
	v_fmac_f32_e32 v5, 0x3ec3ef15, v10
	v_fmac_f32_e32 v4, 0xbf6c835e, v10
	v_mov_b32_e32 v10, v21
	v_mov_b32_e32 v22, v15
	;; [unrolled: 1-line block ×4, first 2 shown]
	v_addc_co_u32_e32 v45, vcc, v82, v45, vcc
	v_lshlrev_b64 v[46:47], 3, v[46:47]
	v_fmac_f32_e32 v4, 0xbec3ef15, v11
	v_mov_b32_e32 v11, v19
	v_pk_fma_f32 v[14:15], v[20:21], 2.0, v[14:15] op_sel_hi:[1,0,1] neg_lo:[0,0,1] neg_hi:[0,0,1]
	v_mov_b32_e32 v18, v1
	v_mov_b32_e32 v19, v73
	;; [unrolled: 1-line block ×4, first 2 shown]
	v_add_co_u32_e32 v46, vcc, v81, v46
	v_mov_b32_e32 v25, v23
	v_mov_b32_e32 v23, v49
	v_pk_fma_f32 v[18:19], v[18:19], 2.0, v[20:21] op_sel_hi:[1,0,1] neg_lo:[0,0,1] neg_hi:[0,0,1]
	v_mov_b32_e32 v1, v72
	v_mov_b32_e32 v20, v13
	;; [unrolled: 1-line block ×3, first 2 shown]
	v_addc_co_u32_e32 v47, vcc, v82, v47, vcc
	v_lshlrev_b64 v[50:51], 3, v[50:51]
	v_pk_fma_f32 v[10:11], v[10:11], 2.0, v[22:23] op_sel_hi:[1,0,1] neg_lo:[0,0,1] neg_hi:[0,0,1]
	v_pk_fma_f32 v[0:1], v[0:1], 2.0, v[20:21] op_sel_hi:[1,0,1] neg_lo:[0,0,1] neg_hi:[0,0,1]
	v_add_co_u32_e32 v50, vcc, v81, v50
	v_pk_add_f32 v[14:15], v[10:11], v[14:15] neg_lo:[0,1] neg_hi:[0,1]
	v_pk_add_f32 v[0:1], v[18:19], v[0:1] neg_lo:[0,1] neg_hi:[0,1]
	v_addc_co_u32_e32 v51, vcc, v82, v51, vcc
	v_lshlrev_b64 v[54:55], 3, v[54:55]
	v_pk_fma_f32 v[38:39], v[24:25], s[4:5], v[40:41] op_sel_hi:[1,0,1]
	v_pk_mul_f32 v[62:63], v[24:25], s[6:7] op_sel_hi:[1,0]
	v_pk_add_f32 v[20:21], v[14:15], v[0:1] neg_lo:[0,1] neg_hi:[0,1]
	v_pk_add_f32 v[24:25], v[14:15], v[0:1]
	v_add_co_u32_e32 v54, vcc, v81, v54
	v_mov_b32_e32 v52, v53
	v_mov_b32_e32 v53, v68
	v_pk_add_f32 v[76:77], v[38:39], v[62:63] op_sel:[0,1] op_sel_hi:[1,0] neg_lo:[0,1] neg_hi:[0,1]
	v_pk_add_f32 v[38:39], v[38:39], v[62:63] op_sel:[0,1] op_sel_hi:[1,0]
	v_mov_b32_e32 v21, v25
	v_pk_mul_f32 v[24:25], v[16:17], s[0:1] op_sel_hi:[1,0]
	v_pk_fma_f32 v[16:17], v[16:17], s[0:1], v[94:95] op_sel_hi:[1,0,1]
	v_mov_b32_e32 v8, v9
	v_mov_b32_e32 v9, v12
	v_addc_co_u32_e32 v55, vcc, v82, v55, vcc
	v_lshlrev_b64 v[56:57], 3, v[56:57]
	v_mov_b32_e32 v77, v39
	v_pk_add_f32 v[38:39], v[16:17], v[24:25] op_sel:[0,1] op_sel_hi:[1,0] neg_lo:[0,1] neg_hi:[0,1]
	v_pk_add_f32 v[16:17], v[16:17], v[24:25] op_sel:[0,1] op_sel_hi:[1,0]
	v_pk_mul_f32 v[24:25], v[28:29], s[0:1] op_sel_hi:[1,0]
	v_pk_fma_f32 v[28:29], v[28:29], s[0:1], v[36:37] op_sel_hi:[1,0,1]
	v_pk_fma_f32 v[22:23], v[22:23], 2.0, v[52:53] op_sel_hi:[1,0,1] neg_lo:[0,0,1] neg_hi:[0,0,1]
	v_pk_fma_f32 v[8:9], v[8:9], 2.0, v[26:27] op_sel_hi:[1,0,1] neg_lo:[0,0,1] neg_hi:[0,0,1]
	v_add_co_u32_e32 v56, vcc, v81, v56
	v_pk_add_f32 v[48:49], v[28:29], v[24:25] op_sel:[0,1] op_sel_hi:[1,0] neg_lo:[0,1] neg_hi:[0,1]
	v_pk_add_f32 v[24:25], v[28:29], v[24:25] op_sel:[0,1] op_sel_hi:[1,0]
	v_mov_b32_e32 v28, v38
	v_pk_mul_f32 v[12:13], v[8:9], s[0:1] op_sel_hi:[1,0]
	v_pk_fma_f32 v[8:9], v[8:9], s[0:1], v[22:23] op_sel_hi:[1,0,1] neg_lo:[1,0,0] neg_hi:[1,0,0]
	v_addc_co_u32_e32 v57, vcc, v82, v57, vcc
	v_lshlrev_b64 v[58:59], 3, v[58:59]
	v_mov_b32_e32 v39, v17
	v_mov_b32_e32 v49, v25
	;; [unrolled: 1-line block ×3, first 2 shown]
	v_fmac_f32_e32 v28, 0x3f6c835e, v48
	v_pk_add_f32 v[26:27], v[8:9], v[12:13] op_sel:[0,1] op_sel_hi:[1,0] neg_lo:[0,1] neg_hi:[0,1]
	v_pk_add_f32 v[8:9], v[8:9], v[12:13] op_sel:[0,1] op_sel_hi:[1,0]
	v_add_co_u32_e32 v58, vcc, v81, v58
	v_fmac_f32_e32 v29, 0x3f6c835e, v25
	v_fmac_f32_e32 v28, 0xbec3ef15, v25
	v_pk_fma_f32 v[24:25], v[94:95], 2.0, v[38:39] op_sel_hi:[1,0,1] neg_lo:[0,0,1] neg_hi:[0,0,1]
	v_pk_fma_f32 v[36:37], v[36:37], 2.0, v[48:49] op_sel_hi:[1,0,1] neg_lo:[0,0,1] neg_hi:[0,0,1]
	v_mov_b32_e32 v27, v9
	v_pk_fma_f32 v[8:9], v[10:11], 2.0, v[14:15] op_sel_hi:[1,0,1] neg_lo:[0,0,1] neg_hi:[0,0,1]
	v_pk_fma_f32 v[0:1], v[18:19], 2.0, v[0:1] op_sel_hi:[1,0,1] neg_lo:[0,0,1] neg_hi:[0,0,1]
	v_addc_co_u32_e32 v59, vcc, v82, v59, vcc
	v_lshlrev_b64 v[60:61], 3, v[60:61]
	v_fma_f32 v16, v38, 2.0, -v28
	v_pk_fma_f32 v[38:39], v[36:37], s[4:5], v[24:25] op_sel_hi:[1,0,1] neg_lo:[1,0,0] neg_hi:[1,0,0]
	v_pk_mul_f32 v[36:37], v[36:37], s[6:7] op_sel_hi:[1,0]
	v_pk_add_f32 v[0:1], v[8:9], v[0:1] op_sel:[0,1] op_sel_hi:[1,0] neg_lo:[0,1] neg_hi:[0,1]
	v_add_co_u32_e32 v60, vcc, v81, v60
	v_fma_f32 v7, v7, 2.0, -v5
	v_fma_f32 v6, v6, 2.0, -v4
	v_fmac_f32_e32 v29, 0x3ec3ef15, v48
	v_pk_add_f32 v[48:49], v[38:39], v[36:37] op_sel:[0,1] op_sel_hi:[1,0] neg_lo:[0,1] neg_hi:[0,1]
	v_pk_add_f32 v[36:37], v[38:39], v[36:37] op_sel:[0,1] op_sel_hi:[1,0]
	v_pk_fma_f32 v[8:9], v[8:9], 2.0, v[0:1] op_sel_hi:[1,0,1] neg_lo:[0,0,1] neg_hi:[0,0,1]
	v_addc_co_u32_e32 v61, vcc, v82, v61, vcc
	v_lshlrev_b64 v[64:65], 3, v[64:65]
	v_mov_b32_e32 v49, v37
	global_store_dwordx2 v[30:31], v[8:9], off
	global_store_dwordx2 v[32:33], v[6:7], off
	v_pk_fma_f32 v[6:7], v[22:23], 2.0, v[26:27] op_sel_hi:[1,0,1] neg_lo:[0,0,1] neg_hi:[0,0,1]
	v_add_co_u32_e32 v64, vcc, v81, v64
	global_store_dwordx2 v[34:35], v[6:7], off
	v_pk_fma_f32 v[6:7], v[24:25], 2.0, v[48:49] op_sel_hi:[1,0,1] neg_lo:[0,0,1] neg_hi:[0,0,1]
	v_addc_co_u32_e32 v65, vcc, v82, v65, vcc
	v_lshlrev_b64 v[66:67], 3, v[66:67]
	global_store_dwordx2 v[2:3], v[6:7], off
	v_pk_fma_f32 v[2:3], v[14:15], 2.0, v[20:21] op_sel_hi:[1,0,1] neg_lo:[0,0,1] neg_hi:[0,0,1]
	v_add_co_u32_e32 v66, vcc, v81, v66
	v_mov_b32_e32 v75, v79
	global_store_dwordx2 v[42:43], v[2:3], off
	v_pk_fma_f32 v[2:3], v[40:41], 2.0, v[76:77] op_sel_hi:[1,0,1] neg_lo:[0,0,1] neg_hi:[0,0,1]
	v_addc_co_u32_e32 v67, vcc, v82, v67, vcc
	v_lshlrev_b64 v[70:71], 3, v[70:71]
	global_store_dwordx2 v[44:45], v[2:3], off
	v_pk_fma_f32 v[2:3], v[68:69], 2.0, v[74:75] op_sel_hi:[1,0,1] neg_lo:[0,0,1] neg_hi:[0,0,1]
	v_add_co_u32_e32 v70, vcc, v81, v70
	v_mov_b32_e32 v6, v3
	v_mov_b32_e32 v7, v2
	v_addc_co_u32_e32 v71, vcc, v82, v71, vcc
	v_fma_f32 v17, v17, 2.0, -v29
	global_store_dwordx2 v[46:47], v[6:7], off
	global_store_dwordx2 v[50:51], v[16:17], off
	;; [unrolled: 1-line block ×8, first 2 shown]
	v_mov_b32_e32 v0, v79
	v_mov_b32_e32 v1, v74
	v_add_u32_e32 v3, 0x2d0, v80
	global_store_dwordx2 v[70:71], v[0:1], off
	v_mad_u64_u32 v[0:1], s[0:1], s2, v3, 0
	v_mov_b32_e32 v2, v1
	v_mad_u64_u32 v[2:3], s[0:1], s3, v3, v[2:3]
	v_mov_b32_e32 v1, v2
	v_lshlrev_b64 v[0:1], 3, v[0:1]
	v_add_co_u32_e32 v0, vcc, v81, v0
	v_addc_co_u32_e32 v1, vcc, v82, v1, vcc
	global_store_dwordx2 v[0:1], v[28:29], off
.LBB0_23:
	s_endpgm
	.section	.rodata,"a",@progbits
	.p2align	6, 0x0
	.amdhsa_kernel fft_rtc_fwd_len768_factors_16_3_16_wgs_48_tpt_48_halfLds_sp_op_CI_CI_sbrr_dirReg
		.amdhsa_group_segment_fixed_size 0
		.amdhsa_private_segment_fixed_size 0
		.amdhsa_kernarg_size 104
		.amdhsa_user_sgpr_count 6
		.amdhsa_user_sgpr_private_segment_buffer 1
		.amdhsa_user_sgpr_dispatch_ptr 0
		.amdhsa_user_sgpr_queue_ptr 0
		.amdhsa_user_sgpr_kernarg_segment_ptr 1
		.amdhsa_user_sgpr_dispatch_id 0
		.amdhsa_user_sgpr_flat_scratch_init 0
		.amdhsa_user_sgpr_kernarg_preload_length 0
		.amdhsa_user_sgpr_kernarg_preload_offset 0
		.amdhsa_user_sgpr_private_segment_size 0
		.amdhsa_uses_dynamic_stack 0
		.amdhsa_system_sgpr_private_segment_wavefront_offset 0
		.amdhsa_system_sgpr_workgroup_id_x 1
		.amdhsa_system_sgpr_workgroup_id_y 0
		.amdhsa_system_sgpr_workgroup_id_z 0
		.amdhsa_system_sgpr_workgroup_info 0
		.amdhsa_system_vgpr_workitem_id 0
		.amdhsa_next_free_vgpr 108
		.amdhsa_next_free_sgpr 32
		.amdhsa_accum_offset 108
		.amdhsa_reserve_vcc 1
		.amdhsa_reserve_flat_scratch 0
		.amdhsa_float_round_mode_32 0
		.amdhsa_float_round_mode_16_64 0
		.amdhsa_float_denorm_mode_32 3
		.amdhsa_float_denorm_mode_16_64 3
		.amdhsa_dx10_clamp 1
		.amdhsa_ieee_mode 1
		.amdhsa_fp16_overflow 0
		.amdhsa_tg_split 0
		.amdhsa_exception_fp_ieee_invalid_op 0
		.amdhsa_exception_fp_denorm_src 0
		.amdhsa_exception_fp_ieee_div_zero 0
		.amdhsa_exception_fp_ieee_overflow 0
		.amdhsa_exception_fp_ieee_underflow 0
		.amdhsa_exception_fp_ieee_inexact 0
		.amdhsa_exception_int_div_zero 0
	.end_amdhsa_kernel
	.text
.Lfunc_end0:
	.size	fft_rtc_fwd_len768_factors_16_3_16_wgs_48_tpt_48_halfLds_sp_op_CI_CI_sbrr_dirReg, .Lfunc_end0-fft_rtc_fwd_len768_factors_16_3_16_wgs_48_tpt_48_halfLds_sp_op_CI_CI_sbrr_dirReg
                                        ; -- End function
	.section	.AMDGPU.csdata,"",@progbits
; Kernel info:
; codeLenInByte = 8056
; NumSgprs: 36
; NumVgprs: 108
; NumAgprs: 0
; TotalNumVgprs: 108
; ScratchSize: 0
; MemoryBound: 0
; FloatMode: 240
; IeeeMode: 1
; LDSByteSize: 0 bytes/workgroup (compile time only)
; SGPRBlocks: 4
; VGPRBlocks: 13
; NumSGPRsForWavesPerEU: 36
; NumVGPRsForWavesPerEU: 108
; AccumOffset: 108
; Occupancy: 4
; WaveLimiterHint : 1
; COMPUTE_PGM_RSRC2:SCRATCH_EN: 0
; COMPUTE_PGM_RSRC2:USER_SGPR: 6
; COMPUTE_PGM_RSRC2:TRAP_HANDLER: 0
; COMPUTE_PGM_RSRC2:TGID_X_EN: 1
; COMPUTE_PGM_RSRC2:TGID_Y_EN: 0
; COMPUTE_PGM_RSRC2:TGID_Z_EN: 0
; COMPUTE_PGM_RSRC2:TIDIG_COMP_CNT: 0
; COMPUTE_PGM_RSRC3_GFX90A:ACCUM_OFFSET: 26
; COMPUTE_PGM_RSRC3_GFX90A:TG_SPLIT: 0
	.text
	.p2alignl 6, 3212836864
	.fill 256, 4, 3212836864
	.type	__hip_cuid_975664c838b875a2,@object ; @__hip_cuid_975664c838b875a2
	.section	.bss,"aw",@nobits
	.globl	__hip_cuid_975664c838b875a2
__hip_cuid_975664c838b875a2:
	.byte	0                               ; 0x0
	.size	__hip_cuid_975664c838b875a2, 1

	.ident	"AMD clang version 19.0.0git (https://github.com/RadeonOpenCompute/llvm-project roc-6.4.0 25133 c7fe45cf4b819c5991fe208aaa96edf142730f1d)"
	.section	".note.GNU-stack","",@progbits
	.addrsig
	.addrsig_sym __hip_cuid_975664c838b875a2
	.amdgpu_metadata
---
amdhsa.kernels:
  - .agpr_count:     0
    .args:
      - .actual_access:  read_only
        .address_space:  global
        .offset:         0
        .size:           8
        .value_kind:     global_buffer
      - .offset:         8
        .size:           8
        .value_kind:     by_value
      - .actual_access:  read_only
        .address_space:  global
        .offset:         16
        .size:           8
        .value_kind:     global_buffer
      - .actual_access:  read_only
        .address_space:  global
        .offset:         24
        .size:           8
        .value_kind:     global_buffer
      - .actual_access:  read_only
        .address_space:  global
        .offset:         32
        .size:           8
        .value_kind:     global_buffer
      - .offset:         40
        .size:           8
        .value_kind:     by_value
      - .actual_access:  read_only
        .address_space:  global
        .offset:         48
        .size:           8
        .value_kind:     global_buffer
      - .actual_access:  read_only
        .address_space:  global
        .offset:         56
        .size:           8
        .value_kind:     global_buffer
      - .offset:         64
        .size:           4
        .value_kind:     by_value
      - .actual_access:  read_only
        .address_space:  global
        .offset:         72
        .size:           8
        .value_kind:     global_buffer
      - .actual_access:  read_only
        .address_space:  global
        .offset:         80
        .size:           8
        .value_kind:     global_buffer
      - .actual_access:  read_only
        .address_space:  global
        .offset:         88
        .size:           8
        .value_kind:     global_buffer
      - .actual_access:  write_only
        .address_space:  global
        .offset:         96
        .size:           8
        .value_kind:     global_buffer
    .group_segment_fixed_size: 0
    .kernarg_segment_align: 8
    .kernarg_segment_size: 104
    .language:       OpenCL C
    .language_version:
      - 2
      - 0
    .max_flat_workgroup_size: 48
    .name:           fft_rtc_fwd_len768_factors_16_3_16_wgs_48_tpt_48_halfLds_sp_op_CI_CI_sbrr_dirReg
    .private_segment_fixed_size: 0
    .sgpr_count:     36
    .sgpr_spill_count: 0
    .symbol:         fft_rtc_fwd_len768_factors_16_3_16_wgs_48_tpt_48_halfLds_sp_op_CI_CI_sbrr_dirReg.kd
    .uniform_work_group_size: 1
    .uses_dynamic_stack: false
    .vgpr_count:     108
    .vgpr_spill_count: 0
    .wavefront_size: 64
amdhsa.target:   amdgcn-amd-amdhsa--gfx90a
amdhsa.version:
  - 1
  - 2
...

	.end_amdgpu_metadata
